;; amdgpu-corpus repo=LLNL/RAJAPerf kind=compiled arch=gfx1250 opt=O3
	.amdgcn_target "amdgcn-amd-amdhsa--gfx1250"
	.amdhsa_code_object_version 6
	.section	.text._ZN8rajaperf4apps8Mass3DPAILm25EEEvPdS2_S2_S2_S2_,"axG",@progbits,_ZN8rajaperf4apps8Mass3DPAILm25EEEvPdS2_S2_S2_S2_,comdat
	.protected	_ZN8rajaperf4apps8Mass3DPAILm25EEEvPdS2_S2_S2_S2_ ; -- Begin function _ZN8rajaperf4apps8Mass3DPAILm25EEEvPdS2_S2_S2_S2_
	.globl	_ZN8rajaperf4apps8Mass3DPAILm25EEEvPdS2_S2_S2_S2_
	.p2align	8
	.type	_ZN8rajaperf4apps8Mass3DPAILm25EEEvPdS2_S2_S2_S2_,@function
_ZN8rajaperf4apps8Mass3DPAILm25EEEvPdS2_S2_S2_S2_: ; @_ZN8rajaperf4apps8Mass3DPAILm25EEEvPdS2_S2_S2_S2_
; %bb.0:
	s_clause 0x1
	s_load_b256 s[4:11], s[0:1], 0x0
	s_load_b64 s[2:3], s[0:1], 0x20
	s_wait_xcnt 0x0
	s_bfe_u32 s0, ttmp6, 0x4000c
	v_bfe_u32 v3, v0, 10, 10
	s_add_co_i32 s0, s0, 1
	s_and_b32 s1, ttmp6, 15
	s_mul_i32 s0, ttmp9, s0
	v_and_b32_e32 v2, 0x3ff, v0
	s_add_co_i32 s1, s1, s0
	s_getreg_b32 s0, hwreg(HW_REG_IB_STS2, 6, 4)
	v_cmp_gt_u32_e32 vcc_lo, 4, v3
	s_cmp_eq_u32 s0, 0
	s_mov_b32 s13, 0
	s_cselect_b32 s12, ttmp9, s1
	s_and_saveexec_b32 s1, vcc_lo
	s_cbranch_execz .LBB0_5
; %bb.1:
	v_lshlrev_b32_e32 v0, 3, v2
	s_mov_b32 s14, exec_lo
	v_cmpx_gt_u32_e32 4, v2
	s_cbranch_execz .LBB0_3
; %bb.2:
	v_dual_mov_b32 v5, 0 :: v_dual_lshlrev_b32 v4, 5, v3
	s_lshl_b64 s[16:17], s[12:13], 9
	s_wait_kmcnt 0x0
	s_add_nc_u64 s[10:11], s[10:11], s[16:17]
	s_delay_alu instid0(VALU_DEP_1) | instid1(SALU_CYCLE_1)
	v_add_nc_u64_e32 v[6:7], s[10:11], v[4:5]
	v_mov_b32_e32 v1, v5
	s_delay_alu instid0(VALU_DEP_1)
	v_add_nc_u64_e32 v[6:7], v[6:7], v[0:1]
	v_add_nc_u32_e32 v1, v4, v0
	s_clause 0x3
	global_load_b64 v[8:9], v[6:7], off
	global_load_b64 v[10:11], v[6:7], off offset:128
	global_load_b64 v[12:13], v[6:7], off offset:256
	;; [unrolled: 1-line block ×3, first 2 shown]
	s_wait_loadcnt 0x2
	ds_store_2addr_b64 v1, v[8:9], v[10:11] offset1:16
	s_wait_loadcnt 0x0
	ds_store_2addr_b64 v1, v[12:13], v[14:15] offset0:32 offset1:48
.LBB0_3:
	s_or_b32 exec_lo, exec_lo, s14
	s_wait_kmcnt 0x0
	s_mov_b32 s10, exec_lo
	v_cmpx_gt_u32_e32 5, v2
	s_xor_b32 s10, exec_lo, s10
	s_cbranch_execz .LBB0_5
; %bb.4:
	v_mad_co_u64_u32 v[4:5], null, v3, 40, s[4:5]
	v_mov_b32_e32 v1, 0
	s_delay_alu instid0(VALU_DEP_1) | instskip(SKIP_1) | instid1(VALU_DEP_1)
	v_add_nc_u64_e32 v[0:1], v[4:5], v[0:1]
	v_lshlrev_b32_e32 v4, 5, v2
	v_lshl_add_u32 v4, v3, 3, v4
	global_load_b64 v[0:1], v[0:1], off
	s_wait_loadcnt 0x0
	ds_store_b64 v4, v[0:1] offset:2016
.LBB0_5:
	s_or_b32 exec_lo, exec_lo, s1
	s_wait_dscnt 0x0
	; wave barrier
	s_and_saveexec_b32 s1, vcc_lo
	s_cbranch_execz .LBB0_8
; %bb.6:
	v_cmp_gt_u32_e64 s0, 5, v2
	s_and_b32 exec_lo, exec_lo, s0
	s_cbranch_execz .LBB0_8
; %bb.7:
	v_dual_lshlrev_b32 v0, 5, v2 :: v_dual_lshlrev_b32 v1, 5, v3
	ds_load_b128 v[4:7], v0 offset:2016
	ds_load_b128 v[8:11], v1
	ds_load_b128 v[12:15], v1 offset:128
	ds_load_b128 v[16:19], v1 offset:256
	;; [unrolled: 1-line block ×8, first 2 shown]
	s_wait_dscnt 0x8
	v_fma_f64 v[0:1], v[8:9], v[4:5], 0
	s_wait_dscnt 0x7
	v_fma_f64 v[8:9], v[12:13], v[4:5], 0
	;; [unrolled: 2-line block ×4, first 2 shown]
	s_delay_alu instid0(VALU_DEP_4) | instskip(NEXT) | instid1(VALU_DEP_4)
	v_fmac_f64_e32 v[0:1], v[10:11], v[6:7]
	v_fmac_f64_e32 v[8:9], v[14:15], v[6:7]
	s_delay_alu instid0(VALU_DEP_4) | instskip(NEXT) | instid1(VALU_DEP_4)
	v_fmac_f64_e32 v[12:13], v[18:19], v[6:7]
	v_fmac_f64_e32 v[4:5], v[22:23], v[6:7]
	v_lshlrev_b32_e32 v6, 3, v2
	s_delay_alu instid0(VALU_DEP_1)
	v_mad_u32_u24 v6, v3, 40, v6
	s_wait_dscnt 0x3
	v_fmac_f64_e32 v[0:1], v[28:29], v[24:25]
	s_wait_dscnt 0x2
	v_fmac_f64_e32 v[8:9], v[32:33], v[24:25]
	;; [unrolled: 2-line block ×4, first 2 shown]
	s_delay_alu instid0(VALU_DEP_4) | instskip(NEXT) | instid1(VALU_DEP_4)
	v_fmac_f64_e32 v[0:1], v[30:31], v[26:27]
	v_fmac_f64_e32 v[8:9], v[34:35], v[26:27]
	s_delay_alu instid0(VALU_DEP_4) | instskip(NEXT) | instid1(VALU_DEP_4)
	v_fmac_f64_e32 v[12:13], v[38:39], v[26:27]
	v_fmac_f64_e32 v[4:5], v[42:43], v[26:27]
	ds_store_2addr_b64 v6, v[0:1], v[8:9] offset0:126 offset1:146
	ds_store_2addr_b64 v6, v[12:13], v[4:5] offset0:166 offset1:186
.LBB0_8:
	s_or_b32 exec_lo, exec_lo, s1
	v_cmp_gt_u32_e64 s0, 5, v3
	s_wait_dscnt 0x0
	; wave barrier
	s_wait_kmcnt 0x0
	s_and_saveexec_b32 s4, s0
	s_cbranch_execz .LBB0_11
; %bb.9:
	v_cmp_gt_u32_e64 s1, 5, v2
	s_and_b32 exec_lo, exec_lo, s1
	s_cbranch_execz .LBB0_11
; %bb.10:
	v_dual_lshlrev_b32 v0, 5, v3 :: v_dual_lshlrev_b32 v32, 3, v2
	ds_load_b128 v[4:7], v0 offset:2016
	ds_load_2addr_b64 v[8:11], v32 offset0:126 offset1:131
	ds_load_2addr_b64 v[12:15], v32 offset0:146 offset1:151
	;; [unrolled: 1-line block ×4, first 2 shown]
	ds_load_b128 v[24:27], v0 offset:2032
	s_wait_dscnt 0x4
	v_fma_f64 v[0:1], v[8:9], v[4:5], 0
	s_wait_dscnt 0x3
	v_fma_f64 v[28:29], v[12:13], v[4:5], 0
	;; [unrolled: 2-line block ×4, first 2 shown]
	s_delay_alu instid0(VALU_DEP_4) | instskip(NEXT) | instid1(VALU_DEP_4)
	v_fmac_f64_e32 v[0:1], v[10:11], v[6:7]
	v_fmac_f64_e32 v[28:29], v[14:15], v[6:7]
	s_delay_alu instid0(VALU_DEP_4) | instskip(NEXT) | instid1(VALU_DEP_4)
	v_fmac_f64_e32 v[30:31], v[18:19], v[6:7]
	v_fmac_f64_e32 v[20:21], v[22:23], v[6:7]
	ds_load_2addr_b64 v[4:7], v32 offset0:136 offset1:141
	ds_load_2addr_b64 v[8:11], v32 offset0:156 offset1:161
	;; [unrolled: 1-line block ×4, first 2 shown]
	s_wait_dscnt 0x3
	v_fmac_f64_e32 v[0:1], v[4:5], v[24:25]
	s_wait_dscnt 0x2
	v_fmac_f64_e32 v[28:29], v[8:9], v[24:25]
	;; [unrolled: 2-line block ×4, first 2 shown]
	v_mad_u32_u24 v4, v3, 40, v32
	v_fmac_f64_e32 v[0:1], v[6:7], v[26:27]
	v_fmac_f64_e32 v[28:29], v[10:11], v[26:27]
	;; [unrolled: 1-line block ×4, first 2 shown]
	ds_store_2addr_b64 v4, v[0:1], v[28:29] offset1:25
	ds_store_2addr_b64 v4, v[30:31], v[20:21] offset0:50 offset1:75
.LBB0_11:
	s_or_b32 exec_lo, exec_lo, s4
	s_wait_dscnt 0x0
	; wave barrier
	s_and_saveexec_b32 s4, s0
	s_cbranch_execz .LBB0_14
; %bb.12:
	v_cmp_gt_u32_e64 s1, 5, v2
	s_and_b32 exec_lo, exec_lo, s1
	s_cbranch_execz .LBB0_14
; %bb.13:
	s_mul_u64 s[10:11], s[12:13], 0x3e8
	v_dual_mov_b32 v45, 0 :: v_dual_lshlrev_b32 v44, 3, v2
	s_add_nc_u64 s[8:9], s[8:9], s[10:11]
	s_delay_alu instid0(SALU_CYCLE_1) | instskip(NEXT) | instid1(VALU_DEP_1)
	v_mad_co_u64_u32 v[0:1], null, v3, 40, s[8:9]
	v_add_nc_u64_e32 v[0:1], v[0:1], v[44:45]
	v_mad_u32_u24 v44, v3, 40, v44
	s_clause 0x4
	global_load_b64 v[46:47], v[0:1], off
	global_load_b64 v[48:49], v[0:1], off offset:200
	global_load_b64 v[50:51], v[0:1], off offset:400
	;; [unrolled: 1-line block ×4, first 2 shown]
	ds_load_b128 v[4:7], v45 offset:2016
	ds_load_2addr_b64 v[8:11], v44 offset1:25
	ds_load_b128 v[12:15], v45 offset:2048
	ds_load_b128 v[16:19], v45 offset:2032
	;; [unrolled: 1-line block ×8, first 2 shown]
	s_wait_dscnt 0x8
	s_wait_xcnt 0x0
	v_fma_f64 v[0:1], v[8:9], v[4:5], 0
	s_wait_dscnt 0x7
	v_fma_f64 v[12:13], v[8:9], v[12:13], 0
	s_wait_dscnt 0x4
	v_fma_f64 v[24:25], v[8:9], v[24:25], 0
	s_delay_alu instid0(VALU_DEP_3) | instskip(NEXT) | instid1(VALU_DEP_3)
	v_fmac_f64_e32 v[0:1], v[10:11], v[6:7]
	v_fmac_f64_e32 v[12:13], v[10:11], v[14:15]
	s_wait_dscnt 0x3
	v_fma_f64 v[14:15], v[8:9], v[28:29], 0
	s_wait_dscnt 0x2
	v_fma_f64 v[28:29], v[8:9], v[32:33], 0
	v_fmac_f64_e32 v[24:25], v[10:11], v[26:27]
	ds_load_b128 v[4:7], v45 offset:2160
	v_fmac_f64_e32 v[14:15], v[10:11], v[30:31]
	v_fmac_f64_e32 v[28:29], v[10:11], v[34:35]
	ds_load_2addr_b64 v[8:11], v44 offset0:50 offset1:75
	s_wait_dscnt 0x0
	v_fmac_f64_e32 v[0:1], v[8:9], v[16:17]
	v_fmac_f64_e32 v[12:13], v[8:9], v[20:21]
	;; [unrolled: 1-line block ×10, first 2 shown]
	s_wait_loadcnt 0x4
	v_mul_f64_e32 v[0:1], v[0:1], v[46:47]
	s_wait_loadcnt 0x3
	v_mul_f64_e32 v[4:5], v[12:13], v[48:49]
	;; [unrolled: 2-line block ×5, first 2 shown]
	ds_store_2addr_b64 v44, v[0:1], v[4:5] offset0:126 offset1:151
	ds_store_2addr_b64 v44, v[6:7], v[8:9] offset0:176 offset1:201
	ds_store_b64 v44, v[10:11] offset:1808
.LBB0_14:
	s_or_b32 exec_lo, exec_lo, s4
	s_wait_dscnt 0x0
	; wave barrier
	s_and_saveexec_b32 s4, vcc_lo
	s_cbranch_execz .LBB0_17
; %bb.15:
	v_cmp_gt_u32_e64 s1, 5, v2
	s_and_b32 exec_lo, exec_lo, s1
	s_cbranch_execz .LBB0_17
; %bb.16:
	v_dual_mov_b32 v1, 0 :: v_dual_lshlrev_b32 v0, 5, v3
	s_delay_alu instid0(VALU_DEP_1) | instskip(SKIP_1) | instid1(VALU_DEP_1)
	v_add_nc_u64_e32 v[4:5], s[6:7], v[0:1]
	v_lshlrev_b32_e32 v0, 3, v2
	v_add_nc_u64_e32 v[4:5], v[4:5], v[0:1]
	v_mad_u32_u24 v0, v3, 40, v0
	global_load_b64 v[4:5], v[4:5], off
	s_wait_loadcnt 0x0
	ds_store_b64 v0, v[4:5] offset:2016
.LBB0_17:
	s_or_b32 exec_lo, exec_lo, s4
	s_wait_dscnt 0x0
	; wave barrier
	s_and_saveexec_b32 s1, s0
	s_cbranch_execz .LBB0_20
; %bb.18:
	v_cmp_gt_u32_e64 s0, 4, v2
	s_and_b32 exec_lo, exec_lo, s0
	s_cbranch_execz .LBB0_20
; %bb.19:
	v_mul_u32_u24_e32 v50, 40, v2
	v_mul_u32_u24_e32 v51, 40, v3
	ds_load_2addr_b64 v[4:7], v50 offset0:252 offset1:253
	ds_load_2addr_b64 v[8:11], v51 offset0:126 offset1:127
	;; [unrolled: 1-line block ×11, first 2 shown]
	ds_load_b64 v[0:1], v51 offset:1840
	s_wait_dscnt 0xa
	v_fma_f64 v[48:49], v[8:9], v[4:5], 0
	s_wait_dscnt 0x9
	v_fma_f64 v[12:13], v[12:13], v[4:5], 0
	s_wait_dscnt 0x8
	v_fma_f64 v[16:17], v[16:17], v[4:5], 0
	s_wait_dscnt 0x7
	v_fma_f64 v[20:21], v[20:21], v[4:5], 0
	s_wait_dscnt 0x6
	v_fma_f64 v[24:25], v[24:25], v[4:5], 0
	v_fmac_f64_e32 v[48:49], v[10:11], v[6:7]
	v_fmac_f64_e32 v[12:13], v[14:15], v[6:7]
	;; [unrolled: 1-line block ×5, first 2 shown]
	ds_load_2addr_b64 v[4:7], v50 offset0:254 offset1:255
	ds_load_b64 v[14:15], v50 offset:2048
	s_wait_dscnt 0x1
	v_fmac_f64_e32 v[48:49], v[28:29], v[4:5]
	v_fmac_f64_e32 v[12:13], v[32:33], v[4:5]
	;; [unrolled: 1-line block ×10, first 2 shown]
	ds_load_2addr_b64 v[4:7], v51 offset0:130 offset1:155
	ds_load_2addr_b64 v[8:11], v51 offset0:180 offset1:205
	s_wait_dscnt 0x1
	v_fmac_f64_e32 v[48:49], v[4:5], v[14:15]
	v_fmac_f64_e32 v[12:13], v[6:7], v[14:15]
	s_wait_dscnt 0x0
	v_fmac_f64_e32 v[16:17], v[8:9], v[14:15]
	v_fmac_f64_e32 v[20:21], v[10:11], v[14:15]
	;; [unrolled: 1-line block ×3, first 2 shown]
	v_lshlrev_b32_e32 v0, 3, v2
	s_delay_alu instid0(VALU_DEP_1)
	v_lshl_add_u32 v0, v3, 5, v0
	ds_store_2addr_b64 v0, v[48:49], v[12:13] offset1:20
	ds_store_2addr_b64 v0, v[16:17], v[20:21] offset0:40 offset1:60
	ds_store_b64 v0, v[24:25] offset:640
.LBB0_20:
	s_or_b32 exec_lo, exec_lo, s1
	s_wait_dscnt 0x0
	; wave barrier
	s_and_saveexec_b32 s1, vcc_lo
	s_cbranch_execz .LBB0_23
; %bb.21:
	v_cmp_gt_u32_e64 s0, 4, v2
	s_and_b32 exec_lo, exec_lo, s0
	s_cbranch_execz .LBB0_23
; %bb.22:
	v_mul_u32_u24_e32 v44, 40, v3
	v_lshlrev_b32_e32 v45, 3, v2
	ds_load_2addr_b64 v[4:7], v44 offset0:252 offset1:253
	ds_load_2addr_b64 v[8:11], v45 offset1:4
	ds_load_2addr_b64 v[12:15], v45 offset0:16 offset1:20
	ds_load_2addr_b64 v[16:19], v45 offset0:40 offset1:44
	;; [unrolled: 1-line block ×5, first 2 shown]
	s_wait_dscnt 0x5
	v_fma_f64 v[0:1], v[8:9], v[4:5], 0
	s_wait_dscnt 0x4
	v_fma_f64 v[36:37], v[14:15], v[4:5], 0
	s_wait_dscnt 0x3
	v_fma_f64 v[38:39], v[16:17], v[4:5], 0
	s_wait_dscnt 0x2
	v_fma_f64 v[40:41], v[22:23], v[4:5], 0
	s_wait_dscnt 0x1
	v_fma_f64 v[42:43], v[24:25], v[4:5], 0
	ds_load_2addr_b64 v[14:17], v45 offset0:24 offset1:28
	ds_load_2addr_b64 v[22:25], v45 offset0:64 offset1:68
	v_fmac_f64_e32 v[0:1], v[10:11], v[6:7]
	s_wait_dscnt 0x1
	v_fmac_f64_e32 v[36:37], v[14:15], v[6:7]
	v_fmac_f64_e32 v[38:39], v[18:19], v[6:7]
	s_wait_dscnt 0x0
	v_fmac_f64_e32 v[40:41], v[22:23], v[6:7]
	v_fmac_f64_e32 v[42:43], v[26:27], v[6:7]
	ds_load_2addr_b64 v[4:7], v45 offset0:8 offset1:12
	ds_load_2addr_b64 v[8:11], v45 offset0:48 offset1:52
	;; [unrolled: 1-line block ×3, first 2 shown]
	s_wait_dscnt 0x2
	v_fmac_f64_e32 v[0:1], v[4:5], v[28:29]
	v_fmac_f64_e32 v[36:37], v[16:17], v[28:29]
	s_wait_dscnt 0x1
	v_fmac_f64_e32 v[38:39], v[8:9], v[28:29]
	v_fmac_f64_e32 v[40:41], v[24:25], v[28:29]
	s_wait_dscnt 0x0
	v_fmac_f64_e32 v[42:43], v[32:33], v[28:29]
	ds_load_2addr_b64 v[14:17], v45 offset0:32 offset1:36
	ds_load_2addr_b64 v[22:25], v45 offset0:72 offset1:76
	v_fmac_f64_e32 v[0:1], v[6:7], v[30:31]
	s_wait_dscnt 0x1
	v_fmac_f64_e32 v[36:37], v[14:15], v[30:31]
	v_fmac_f64_e32 v[38:39], v[10:11], v[30:31]
	s_wait_dscnt 0x0
	v_fmac_f64_e32 v[40:41], v[22:23], v[30:31]
	v_fmac_f64_e32 v[42:43], v[34:35], v[30:31]
	ds_load_b64 v[4:5], v44 offset:2048
	ds_load_b64 v[6:7], v45 offset:768
	s_wait_dscnt 0x1
	v_fmac_f64_e32 v[0:1], v[12:13], v[4:5]
	v_fmac_f64_e32 v[36:37], v[16:17], v[4:5]
	;; [unrolled: 1-line block ×4, first 2 shown]
	s_wait_dscnt 0x0
	v_fmac_f64_e32 v[42:43], v[6:7], v[4:5]
	v_lshl_add_u32 v4, v3, 5, v45
	ds_store_2addr_b64 v4, v[0:1], v[36:37] offset0:126 offset1:142
	ds_store_2addr_b64 v4, v[38:39], v[40:41] offset0:158 offset1:174
	ds_store_b64 v4, v[42:43] offset:1520
.LBB0_23:
	s_or_b32 exec_lo, exec_lo, s1
	s_wait_dscnt 0x0
	; wave barrier
	s_and_saveexec_b32 s0, vcc_lo
	s_cbranch_execz .LBB0_26
; %bb.24:
	v_cmp_gt_u32_e32 vcc_lo, 4, v2
	s_and_b32 exec_lo, exec_lo, vcc_lo
	s_cbranch_execz .LBB0_26
; %bb.25:
	v_dual_mov_b32 v37, 0 :: v_dual_lshlrev_b32 v36, 5, v3
	s_lshl_b64 s[0:1], s[12:13], 9
	v_lshlrev_b32_e32 v2, 3, v2
	s_add_nc_u64 s[0:1], s[2:3], s[0:1]
	s_delay_alu instid0(VALU_DEP_2) | instid1(SALU_CYCLE_1)
	v_add_nc_u64_e32 v[0:1], s[0:1], v[36:37]
	s_delay_alu instid0(VALU_DEP_2) | instskip(NEXT) | instid1(VALU_DEP_1)
	v_dual_mov_b32 v3, v37 :: v_dual_add_nc_u32 v36, v36, v2
	v_add_nc_u64_e32 v[38:39], v[0:1], v[2:3]
	s_clause 0x3
	global_load_b64 v[40:41], v[38:39], off
	global_load_b64 v[42:43], v[38:39], off offset:128
	global_load_b64 v[44:45], v[38:39], off offset:256
	;; [unrolled: 1-line block ×3, first 2 shown]
	ds_load_2addr_b64 v[0:3], v36 offset0:126 offset1:142
	ds_load_b128 v[4:7], v37 offset:2016
	ds_load_b128 v[8:11], v37 offset:2032
	;; [unrolled: 1-line block ×8, first 2 shown]
	s_wait_dscnt 0x7
	v_fma_f64 v[48:49], v[0:1], v[4:5], 0
	s_wait_dscnt 0x3
	v_fma_f64 v[22:23], v[0:1], v[22:23], 0
	v_fma_f64 v[50:51], v[0:1], v[14:15], 0
	v_fma_f64 v[52:53], v[0:1], v[16:17], 0
	s_delay_alu instid0(VALU_DEP_4)
	v_fmac_f64_e32 v[48:49], v[2:3], v[6:7]
	ds_load_b128 v[4:7], v37 offset:2144
	ds_load_b128 v[14:17], v37 offset:2160
	s_wait_dscnt 0x4
	v_fmac_f64_e32 v[50:51], v[2:3], v[24:25]
	v_fmac_f64_e32 v[52:53], v[2:3], v[18:19]
	s_wait_dscnt 0x1
	v_fmac_f64_e32 v[22:23], v[2:3], v[4:5]
	ds_load_2addr_b64 v[0:3], v36 offset0:158 offset1:174
	s_wait_dscnt 0x0
	v_fmac_f64_e32 v[48:49], v[0:1], v[8:9]
	v_fmac_f64_e32 v[50:51], v[0:1], v[26:27]
	;; [unrolled: 1-line block ×4, first 2 shown]
	ds_load_b64 v[0:1], v36 offset:1520
	v_fmac_f64_e32 v[48:49], v[2:3], v[10:11]
	v_fmac_f64_e32 v[50:51], v[2:3], v[32:33]
	;; [unrolled: 1-line block ×4, first 2 shown]
	s_wait_dscnt 0x0
	s_delay_alu instid0(VALU_DEP_4) | instskip(NEXT) | instid1(VALU_DEP_4)
	v_fmac_f64_e32 v[48:49], v[0:1], v[12:13]
	v_fmac_f64_e32 v[50:51], v[0:1], v[34:35]
	s_delay_alu instid0(VALU_DEP_4) | instskip(NEXT) | instid1(VALU_DEP_4)
	v_fmac_f64_e32 v[52:53], v[0:1], v[20:21]
	v_fmac_f64_e32 v[22:23], v[0:1], v[16:17]
	s_wait_loadcnt 0x3
	s_delay_alu instid0(VALU_DEP_4) | instskip(SKIP_1) | instid1(VALU_DEP_4)
	v_add_f64_e32 v[0:1], v[48:49], v[40:41]
	s_wait_loadcnt 0x2
	v_add_f64_e32 v[2:3], v[50:51], v[42:43]
	s_wait_loadcnt 0x1
	s_delay_alu instid0(VALU_DEP_4) | instskip(SKIP_1) | instid1(VALU_DEP_4)
	v_add_f64_e32 v[4:5], v[52:53], v[44:45]
	s_wait_loadcnt 0x0
	v_add_f64_e32 v[6:7], v[22:23], v[46:47]
	s_clause 0x3
	global_store_b64 v[38:39], v[0:1], off
	global_store_b64 v[38:39], v[2:3], off offset:128
	global_store_b64 v[38:39], v[4:5], off offset:256
	;; [unrolled: 1-line block ×3, first 2 shown]
.LBB0_26:
	s_endpgm
	.section	.rodata,"a",@progbits
	.p2align	6, 0x0
	.amdhsa_kernel _ZN8rajaperf4apps8Mass3DPAILm25EEEvPdS2_S2_S2_S2_
		.amdhsa_group_segment_fixed_size 2176
		.amdhsa_private_segment_fixed_size 0
		.amdhsa_kernarg_size 40
		.amdhsa_user_sgpr_count 2
		.amdhsa_user_sgpr_dispatch_ptr 0
		.amdhsa_user_sgpr_queue_ptr 0
		.amdhsa_user_sgpr_kernarg_segment_ptr 1
		.amdhsa_user_sgpr_dispatch_id 0
		.amdhsa_user_sgpr_kernarg_preload_length 0
		.amdhsa_user_sgpr_kernarg_preload_offset 0
		.amdhsa_user_sgpr_private_segment_size 0
		.amdhsa_wavefront_size32 1
		.amdhsa_uses_dynamic_stack 0
		.amdhsa_enable_private_segment 0
		.amdhsa_system_sgpr_workgroup_id_x 1
		.amdhsa_system_sgpr_workgroup_id_y 0
		.amdhsa_system_sgpr_workgroup_id_z 0
		.amdhsa_system_sgpr_workgroup_info 0
		.amdhsa_system_vgpr_workitem_id 1
		.amdhsa_next_free_vgpr 56
		.amdhsa_next_free_sgpr 18
		.amdhsa_named_barrier_count 0
		.amdhsa_reserve_vcc 1
		.amdhsa_float_round_mode_32 0
		.amdhsa_float_round_mode_16_64 0
		.amdhsa_float_denorm_mode_32 3
		.amdhsa_float_denorm_mode_16_64 3
		.amdhsa_fp16_overflow 0
		.amdhsa_memory_ordered 1
		.amdhsa_forward_progress 1
		.amdhsa_inst_pref_size 21
		.amdhsa_round_robin_scheduling 0
		.amdhsa_exception_fp_ieee_invalid_op 0
		.amdhsa_exception_fp_denorm_src 0
		.amdhsa_exception_fp_ieee_div_zero 0
		.amdhsa_exception_fp_ieee_overflow 0
		.amdhsa_exception_fp_ieee_underflow 0
		.amdhsa_exception_fp_ieee_inexact 0
		.amdhsa_exception_int_div_zero 0
	.end_amdhsa_kernel
	.section	.text._ZN8rajaperf4apps8Mass3DPAILm25EEEvPdS2_S2_S2_S2_,"axG",@progbits,_ZN8rajaperf4apps8Mass3DPAILm25EEEvPdS2_S2_S2_S2_,comdat
.Lfunc_end0:
	.size	_ZN8rajaperf4apps8Mass3DPAILm25EEEvPdS2_S2_S2_S2_, .Lfunc_end0-_ZN8rajaperf4apps8Mass3DPAILm25EEEvPdS2_S2_S2_S2_
                                        ; -- End function
	.set _ZN8rajaperf4apps8Mass3DPAILm25EEEvPdS2_S2_S2_S2_.num_vgpr, 56
	.set _ZN8rajaperf4apps8Mass3DPAILm25EEEvPdS2_S2_S2_S2_.num_agpr, 0
	.set _ZN8rajaperf4apps8Mass3DPAILm25EEEvPdS2_S2_S2_S2_.numbered_sgpr, 18
	.set _ZN8rajaperf4apps8Mass3DPAILm25EEEvPdS2_S2_S2_S2_.num_named_barrier, 0
	.set _ZN8rajaperf4apps8Mass3DPAILm25EEEvPdS2_S2_S2_S2_.private_seg_size, 0
	.set _ZN8rajaperf4apps8Mass3DPAILm25EEEvPdS2_S2_S2_S2_.uses_vcc, 1
	.set _ZN8rajaperf4apps8Mass3DPAILm25EEEvPdS2_S2_S2_S2_.uses_flat_scratch, 0
	.set _ZN8rajaperf4apps8Mass3DPAILm25EEEvPdS2_S2_S2_S2_.has_dyn_sized_stack, 0
	.set _ZN8rajaperf4apps8Mass3DPAILm25EEEvPdS2_S2_S2_S2_.has_recursion, 0
	.set _ZN8rajaperf4apps8Mass3DPAILm25EEEvPdS2_S2_S2_S2_.has_indirect_call, 0
	.section	.AMDGPU.csdata,"",@progbits
; Kernel info:
; codeLenInByte = 2584
; TotalNumSgprs: 20
; NumVgprs: 56
; ScratchSize: 0
; MemoryBound: 0
; FloatMode: 240
; IeeeMode: 1
; LDSByteSize: 2176 bytes/workgroup (compile time only)
; SGPRBlocks: 0
; VGPRBlocks: 3
; NumSGPRsForWavesPerEU: 20
; NumVGPRsForWavesPerEU: 56
; NamedBarCnt: 0
; Occupancy: 16
; WaveLimiterHint : 1
; COMPUTE_PGM_RSRC2:SCRATCH_EN: 0
; COMPUTE_PGM_RSRC2:USER_SGPR: 2
; COMPUTE_PGM_RSRC2:TRAP_HANDLER: 0
; COMPUTE_PGM_RSRC2:TGID_X_EN: 1
; COMPUTE_PGM_RSRC2:TGID_Y_EN: 0
; COMPUTE_PGM_RSRC2:TGID_Z_EN: 0
; COMPUTE_PGM_RSRC2:TIDIG_COMP_CNT: 1
	.section	.text._ZN4RAJA34launch_new_reduce_global_fcn_fixedIZN8rajaperf4apps8MASS3DPA17runHipVariantImplILm25EEEvNS1_9VariantIDEEUlNS_14LaunchContextTINS_3hip33LaunchContextIndicesAndDimsPolicyINS7_14IndicesAndDimsILb0ELb0ELb0ELb0EEEEEEEE_Li25ENS_4expt15ForallParamPackIJEEEEEvT_T1_,"axG",@progbits,_ZN4RAJA34launch_new_reduce_global_fcn_fixedIZN8rajaperf4apps8MASS3DPA17runHipVariantImplILm25EEEvNS1_9VariantIDEEUlNS_14LaunchContextTINS_3hip33LaunchContextIndicesAndDimsPolicyINS7_14IndicesAndDimsILb0ELb0ELb0ELb0EEEEEEEE_Li25ENS_4expt15ForallParamPackIJEEEEEvT_T1_,comdat
	.protected	_ZN4RAJA34launch_new_reduce_global_fcn_fixedIZN8rajaperf4apps8MASS3DPA17runHipVariantImplILm25EEEvNS1_9VariantIDEEUlNS_14LaunchContextTINS_3hip33LaunchContextIndicesAndDimsPolicyINS7_14IndicesAndDimsILb0ELb0ELb0ELb0EEEEEEEE_Li25ENS_4expt15ForallParamPackIJEEEEEvT_T1_ ; -- Begin function _ZN4RAJA34launch_new_reduce_global_fcn_fixedIZN8rajaperf4apps8MASS3DPA17runHipVariantImplILm25EEEvNS1_9VariantIDEEUlNS_14LaunchContextTINS_3hip33LaunchContextIndicesAndDimsPolicyINS7_14IndicesAndDimsILb0ELb0ELb0ELb0EEEEEEEE_Li25ENS_4expt15ForallParamPackIJEEEEEvT_T1_
	.globl	_ZN4RAJA34launch_new_reduce_global_fcn_fixedIZN8rajaperf4apps8MASS3DPA17runHipVariantImplILm25EEEvNS1_9VariantIDEEUlNS_14LaunchContextTINS_3hip33LaunchContextIndicesAndDimsPolicyINS7_14IndicesAndDimsILb0ELb0ELb0ELb0EEEEEEEE_Li25ENS_4expt15ForallParamPackIJEEEEEvT_T1_
	.p2align	8
	.type	_ZN4RAJA34launch_new_reduce_global_fcn_fixedIZN8rajaperf4apps8MASS3DPA17runHipVariantImplILm25EEEvNS1_9VariantIDEEUlNS_14LaunchContextTINS_3hip33LaunchContextIndicesAndDimsPolicyINS7_14IndicesAndDimsILb0ELb0ELb0ELb0EEEEEEEE_Li25ENS_4expt15ForallParamPackIJEEEEEvT_T1_,@function
_ZN4RAJA34launch_new_reduce_global_fcn_fixedIZN8rajaperf4apps8MASS3DPA17runHipVariantImplILm25EEEvNS1_9VariantIDEEUlNS_14LaunchContextTINS_3hip33LaunchContextIndicesAndDimsPolicyINS7_14IndicesAndDimsILb0ELb0ELb0ELb0EEEEEEEE_Li25ENS_4expt15ForallParamPackIJEEEEEvT_T1_: ; @_ZN4RAJA34launch_new_reduce_global_fcn_fixedIZN8rajaperf4apps8MASS3DPA17runHipVariantImplILm25EEEvNS1_9VariantIDEEUlNS_14LaunchContextTINS_3hip33LaunchContextIndicesAndDimsPolicyINS7_14IndicesAndDimsILb0ELb0ELb0ELb0EEEEEEEE_Li25ENS_4expt15ForallParamPackIJEEEEEvT_T1_
; %bb.0:
	s_load_b256 s[4:11], s[0:1], 0x0
	s_bfe_u32 s2, ttmp6, 0x4000c
	s_and_b32 s3, ttmp6, 15
	s_add_co_i32 s2, s2, 1
	s_getreg_b32 s12, hwreg(HW_REG_IB_STS2, 6, 4)
	s_mul_i32 s2, ttmp9, s2
	s_delay_alu instid0(SALU_CYCLE_1)
	s_add_co_i32 s2, s3, s2
	s_cmp_eq_u32 s12, 0
	s_mov_b32 s3, 0
	s_cselect_b32 s2, ttmp9, s2
	s_wait_kmcnt 0x0
	v_cmp_le_i64_e64 s4, s[4:5], s[2:3]
	s_and_b32 vcc_lo, exec_lo, s4
	s_cbranch_vccnz .LBB1_27
; %bb.1:
	s_load_b128 s[12:15], s[0:1], 0x20
	v_bfe_u32 v3, v0, 10, 10
	v_and_b32_e32 v2, 0x3ff, v0
	s_delay_alu instid0(VALU_DEP_2)
	v_cmp_gt_u32_e32 vcc_lo, 4, v3
	s_wait_xcnt 0x0
	s_and_saveexec_b32 s1, vcc_lo
	s_cbranch_execz .LBB1_6
; %bb.2:
	v_lshlrev_b32_e32 v0, 3, v2
	s_mov_b32 s4, exec_lo
	v_cmpx_gt_u32_e32 4, v2
	s_cbranch_execz .LBB1_4
; %bb.3:
	v_dual_mov_b32 v5, 0 :: v_dual_lshlrev_b32 v4, 5, v3
	s_delay_alu instid0(VALU_DEP_1) | instskip(SKIP_2) | instid1(VALU_DEP_2)
	v_add_nc_u64_e32 v[6:7], s[6:7], v[4:5]
	s_lshl_b64 s[6:7], s[2:3], 9
	v_mov_b32_e32 v1, v5
	v_add_nc_u64_e32 v[6:7], s[6:7], v[6:7]
	s_delay_alu instid0(VALU_DEP_1)
	v_add_nc_u64_e32 v[6:7], v[6:7], v[0:1]
	v_add_nc_u32_e32 v1, v4, v0
	s_clause 0x3
	global_load_b64 v[8:9], v[6:7], off
	global_load_b64 v[10:11], v[6:7], off offset:128
	global_load_b64 v[12:13], v[6:7], off offset:256
	;; [unrolled: 1-line block ×3, first 2 shown]
	s_wait_loadcnt 0x2
	ds_store_2addr_b64 v1, v[8:9], v[10:11] offset1:16
	s_wait_loadcnt 0x0
	ds_store_2addr_b64 v1, v[12:13], v[14:15] offset0:32 offset1:48
.LBB1_4:
	s_or_b32 exec_lo, exec_lo, s4
	v_cmp_gt_u32_e64 s0, 5, v2
	s_and_b32 exec_lo, exec_lo, s0
	s_cbranch_execz .LBB1_6
; %bb.5:
	v_mad_co_u64_u32 v[4:5], null, v3, 40, s[8:9]
	v_mov_b32_e32 v1, 0
	s_delay_alu instid0(VALU_DEP_1) | instskip(SKIP_1) | instid1(VALU_DEP_1)
	v_add_nc_u64_e32 v[0:1], v[4:5], v[0:1]
	v_lshlrev_b32_e32 v4, 5, v2
	v_lshl_add_u32 v4, v3, 3, v4
	global_load_b64 v[0:1], v[0:1], off
	s_wait_loadcnt 0x0
	ds_store_b64 v4, v[0:1] offset:2016
.LBB1_6:
	s_or_b32 exec_lo, exec_lo, s1
	s_wait_dscnt 0x0
	; wave barrier
	s_and_saveexec_b32 s1, vcc_lo
	s_cbranch_execz .LBB1_9
; %bb.7:
	v_cmp_gt_u32_e64 s0, 5, v2
	s_and_b32 exec_lo, exec_lo, s0
	s_cbranch_execz .LBB1_9
; %bb.8:
	v_dual_lshlrev_b32 v0, 5, v2 :: v_dual_lshlrev_b32 v1, 5, v3
	ds_load_b128 v[4:7], v0 offset:2016
	ds_load_b128 v[8:11], v1
	ds_load_b128 v[12:15], v1 offset:128
	ds_load_b128 v[16:19], v1 offset:256
	;; [unrolled: 1-line block ×8, first 2 shown]
	s_wait_dscnt 0x8
	v_fma_f64 v[0:1], v[4:5], v[8:9], 0
	s_wait_dscnt 0x7
	v_fma_f64 v[8:9], v[4:5], v[12:13], 0
	;; [unrolled: 2-line block ×4, first 2 shown]
	s_delay_alu instid0(VALU_DEP_4) | instskip(NEXT) | instid1(VALU_DEP_4)
	v_fmac_f64_e32 v[0:1], v[6:7], v[10:11]
	v_fmac_f64_e32 v[8:9], v[6:7], v[14:15]
	s_delay_alu instid0(VALU_DEP_4) | instskip(NEXT) | instid1(VALU_DEP_4)
	v_fmac_f64_e32 v[12:13], v[6:7], v[18:19]
	v_fmac_f64_e32 v[4:5], v[6:7], v[22:23]
	v_lshlrev_b32_e32 v6, 3, v2
	s_delay_alu instid0(VALU_DEP_1)
	v_mad_u32_u24 v6, v3, 40, v6
	s_wait_dscnt 0x3
	v_fmac_f64_e32 v[0:1], v[24:25], v[28:29]
	s_wait_dscnt 0x2
	v_fmac_f64_e32 v[8:9], v[24:25], v[32:33]
	;; [unrolled: 2-line block ×4, first 2 shown]
	s_delay_alu instid0(VALU_DEP_4) | instskip(NEXT) | instid1(VALU_DEP_4)
	v_fmac_f64_e32 v[0:1], v[26:27], v[30:31]
	v_fmac_f64_e32 v[8:9], v[26:27], v[34:35]
	s_delay_alu instid0(VALU_DEP_4) | instskip(NEXT) | instid1(VALU_DEP_4)
	v_fmac_f64_e32 v[12:13], v[26:27], v[38:39]
	v_fmac_f64_e32 v[4:5], v[26:27], v[42:43]
	ds_store_2addr_b64 v6, v[0:1], v[8:9] offset0:126 offset1:146
	ds_store_2addr_b64 v6, v[12:13], v[4:5] offset0:166 offset1:186
.LBB1_9:
	s_or_b32 exec_lo, exec_lo, s1
	v_cmp_gt_u32_e64 s0, 5, v3
	s_wait_dscnt 0x0
	; wave barrier
	s_and_saveexec_b32 s4, s0
	s_cbranch_execz .LBB1_12
; %bb.10:
	v_cmp_gt_u32_e64 s1, 5, v2
	s_and_b32 exec_lo, exec_lo, s1
	s_cbranch_execz .LBB1_12
; %bb.11:
	v_dual_lshlrev_b32 v0, 5, v3 :: v_dual_lshlrev_b32 v32, 3, v2
	ds_load_b128 v[4:7], v0 offset:2016
	ds_load_2addr_b64 v[8:11], v32 offset0:126 offset1:131
	ds_load_2addr_b64 v[12:15], v32 offset0:146 offset1:151
	;; [unrolled: 1-line block ×4, first 2 shown]
	ds_load_b128 v[24:27], v0 offset:2032
	s_wait_dscnt 0x4
	v_fma_f64 v[0:1], v[4:5], v[8:9], 0
	s_wait_dscnt 0x3
	v_fma_f64 v[28:29], v[4:5], v[12:13], 0
	;; [unrolled: 2-line block ×4, first 2 shown]
	s_delay_alu instid0(VALU_DEP_4) | instskip(NEXT) | instid1(VALU_DEP_4)
	v_fmac_f64_e32 v[0:1], v[6:7], v[10:11]
	v_fmac_f64_e32 v[28:29], v[6:7], v[14:15]
	s_delay_alu instid0(VALU_DEP_4) | instskip(NEXT) | instid1(VALU_DEP_4)
	v_fmac_f64_e32 v[30:31], v[6:7], v[18:19]
	v_fmac_f64_e32 v[20:21], v[6:7], v[22:23]
	ds_load_2addr_b64 v[4:7], v32 offset0:136 offset1:141
	ds_load_2addr_b64 v[8:11], v32 offset0:156 offset1:161
	ds_load_2addr_b64 v[12:15], v32 offset0:176 offset1:181
	ds_load_2addr_b64 v[16:19], v32 offset0:196 offset1:201
	s_wait_dscnt 0x3
	v_fmac_f64_e32 v[0:1], v[24:25], v[4:5]
	s_wait_dscnt 0x2
	v_fmac_f64_e32 v[28:29], v[24:25], v[8:9]
	;; [unrolled: 2-line block ×4, first 2 shown]
	v_mad_u32_u24 v4, v3, 40, v32
	v_fmac_f64_e32 v[0:1], v[26:27], v[6:7]
	v_fmac_f64_e32 v[28:29], v[26:27], v[10:11]
	;; [unrolled: 1-line block ×4, first 2 shown]
	ds_store_2addr_b64 v4, v[0:1], v[28:29] offset1:25
	ds_store_2addr_b64 v4, v[30:31], v[20:21] offset0:50 offset1:75
.LBB1_12:
	s_or_b32 exec_lo, exec_lo, s4
	s_wait_dscnt 0x0
	; wave barrier
	s_and_saveexec_b32 s4, s0
	s_cbranch_execz .LBB1_15
; %bb.13:
	v_cmp_gt_u32_e64 s1, 5, v2
	s_and_b32 exec_lo, exec_lo, s1
	s_cbranch_execz .LBB1_15
; %bb.14:
	v_mad_co_u64_u32 v[0:1], null, v3, 40, s[10:11]
	v_dual_mov_b32 v45, 0 :: v_dual_lshlrev_b32 v44, 3, v2
	s_delay_alu instid0(VALU_DEP_2) | instskip(NEXT) | instid1(VALU_DEP_1)
	v_mad_nc_u64_u32 v[0:1], 0x3e8, s2, v[0:1]
	v_add_nc_u64_e32 v[0:1], v[0:1], v[44:45]
	v_mad_u32_u24 v44, v3, 40, v44
	s_clause 0x4
	global_load_b64 v[46:47], v[0:1], off
	global_load_b64 v[48:49], v[0:1], off offset:200
	global_load_b64 v[50:51], v[0:1], off offset:400
	;; [unrolled: 1-line block ×4, first 2 shown]
	ds_load_b128 v[4:7], v45 offset:2016
	ds_load_2addr_b64 v[8:11], v44 offset1:25
	ds_load_b128 v[12:15], v45 offset:2048
	ds_load_b128 v[16:19], v45 offset:2032
	;; [unrolled: 1-line block ×8, first 2 shown]
	s_wait_dscnt 0x8
	s_wait_xcnt 0x0
	v_fma_f64 v[0:1], v[8:9], v[4:5], 0
	s_wait_dscnt 0x7
	v_fma_f64 v[12:13], v[8:9], v[12:13], 0
	s_wait_dscnt 0x4
	v_fma_f64 v[24:25], v[8:9], v[24:25], 0
	s_delay_alu instid0(VALU_DEP_3) | instskip(NEXT) | instid1(VALU_DEP_3)
	v_fmac_f64_e32 v[0:1], v[10:11], v[6:7]
	v_fmac_f64_e32 v[12:13], v[10:11], v[14:15]
	s_wait_dscnt 0x3
	v_fma_f64 v[14:15], v[8:9], v[28:29], 0
	s_wait_dscnt 0x2
	v_fma_f64 v[28:29], v[8:9], v[32:33], 0
	v_fmac_f64_e32 v[24:25], v[10:11], v[26:27]
	ds_load_b128 v[4:7], v45 offset:2160
	v_fmac_f64_e32 v[14:15], v[10:11], v[30:31]
	v_fmac_f64_e32 v[28:29], v[10:11], v[34:35]
	ds_load_2addr_b64 v[8:11], v44 offset0:50 offset1:75
	s_wait_dscnt 0x0
	v_fmac_f64_e32 v[0:1], v[8:9], v[16:17]
	v_fmac_f64_e32 v[12:13], v[8:9], v[20:21]
	;; [unrolled: 1-line block ×10, first 2 shown]
	s_wait_loadcnt 0x4
	v_mul_f64_e32 v[0:1], v[0:1], v[46:47]
	s_wait_loadcnt 0x3
	v_mul_f64_e32 v[4:5], v[12:13], v[48:49]
	;; [unrolled: 2-line block ×5, first 2 shown]
	ds_store_2addr_b64 v44, v[0:1], v[4:5] offset0:126 offset1:151
	ds_store_2addr_b64 v44, v[6:7], v[8:9] offset0:176 offset1:201
	ds_store_b64 v44, v[10:11] offset:1808
.LBB1_15:
	s_or_b32 exec_lo, exec_lo, s4
	s_wait_dscnt 0x0
	; wave barrier
	s_and_saveexec_b32 s4, vcc_lo
	s_cbranch_execz .LBB1_18
; %bb.16:
	v_cmp_gt_u32_e64 s1, 5, v2
	s_and_b32 exec_lo, exec_lo, s1
	s_cbranch_execz .LBB1_18
; %bb.17:
	v_dual_mov_b32 v1, 0 :: v_dual_lshlrev_b32 v0, 5, v3
	s_wait_kmcnt 0x0
	s_delay_alu instid0(VALU_DEP_1) | instskip(SKIP_1) | instid1(VALU_DEP_1)
	v_add_nc_u64_e32 v[4:5], s[12:13], v[0:1]
	v_lshlrev_b32_e32 v0, 3, v2
	v_add_nc_u64_e32 v[4:5], v[4:5], v[0:1]
	v_mad_u32_u24 v0, v3, 40, v0
	global_load_b64 v[4:5], v[4:5], off
	s_wait_loadcnt 0x0
	ds_store_b64 v0, v[4:5] offset:2016
.LBB1_18:
	s_or_b32 exec_lo, exec_lo, s4
	s_wait_dscnt 0x0
	; wave barrier
	s_and_saveexec_b32 s1, s0
	s_cbranch_execz .LBB1_21
; %bb.19:
	v_cmp_gt_u32_e64 s0, 4, v2
	s_and_b32 exec_lo, exec_lo, s0
	s_cbranch_execz .LBB1_21
; %bb.20:
	v_mul_u32_u24_e32 v50, 40, v2
	v_mul_u32_u24_e32 v51, 40, v3
	ds_load_2addr_b64 v[4:7], v50 offset0:252 offset1:253
	ds_load_2addr_b64 v[8:11], v51 offset0:126 offset1:127
	;; [unrolled: 1-line block ×11, first 2 shown]
	ds_load_b64 v[0:1], v51 offset:1840
	s_wait_dscnt 0xa
	v_fma_f64 v[48:49], v[4:5], v[8:9], 0
	s_wait_dscnt 0x9
	v_fma_f64 v[12:13], v[4:5], v[12:13], 0
	;; [unrolled: 2-line block ×5, first 2 shown]
	v_fmac_f64_e32 v[48:49], v[6:7], v[10:11]
	v_fmac_f64_e32 v[12:13], v[6:7], v[14:15]
	;; [unrolled: 1-line block ×5, first 2 shown]
	ds_load_2addr_b64 v[4:7], v50 offset0:254 offset1:255
	ds_load_b64 v[14:15], v50 offset:2048
	s_wait_dscnt 0x1
	v_fmac_f64_e32 v[48:49], v[4:5], v[28:29]
	v_fmac_f64_e32 v[12:13], v[4:5], v[32:33]
	;; [unrolled: 1-line block ×10, first 2 shown]
	ds_load_2addr_b64 v[4:7], v51 offset0:130 offset1:155
	ds_load_2addr_b64 v[8:11], v51 offset0:180 offset1:205
	s_wait_dscnt 0x1
	v_fmac_f64_e32 v[48:49], v[14:15], v[4:5]
	v_fmac_f64_e32 v[12:13], v[14:15], v[6:7]
	s_wait_dscnt 0x0
	v_fmac_f64_e32 v[16:17], v[14:15], v[8:9]
	v_fmac_f64_e32 v[20:21], v[14:15], v[10:11]
	;; [unrolled: 1-line block ×3, first 2 shown]
	v_lshlrev_b32_e32 v0, 3, v2
	s_delay_alu instid0(VALU_DEP_1)
	v_lshl_add_u32 v0, v3, 5, v0
	ds_store_2addr_b64 v0, v[48:49], v[12:13] offset1:20
	ds_store_2addr_b64 v0, v[16:17], v[20:21] offset0:40 offset1:60
	ds_store_b64 v0, v[24:25] offset:640
.LBB1_21:
	s_or_b32 exec_lo, exec_lo, s1
	s_wait_dscnt 0x0
	; wave barrier
	s_and_saveexec_b32 s1, vcc_lo
	s_cbranch_execz .LBB1_24
; %bb.22:
	v_cmp_gt_u32_e64 s0, 4, v2
	s_and_b32 exec_lo, exec_lo, s0
	s_cbranch_execz .LBB1_24
; %bb.23:
	v_mul_u32_u24_e32 v44, 40, v3
	v_lshlrev_b32_e32 v45, 3, v2
	ds_load_2addr_b64 v[4:7], v44 offset0:252 offset1:253
	ds_load_2addr_b64 v[8:11], v45 offset1:4
	ds_load_2addr_b64 v[12:15], v45 offset0:16 offset1:20
	ds_load_2addr_b64 v[16:19], v45 offset0:40 offset1:44
	ds_load_2addr_b64 v[20:23], v45 offset0:56 offset1:60
	ds_load_2addr_b64 v[24:27], v45 offset0:80 offset1:84
	ds_load_2addr_b64 v[28:31], v44 offset0:254 offset1:255
	s_wait_dscnt 0x5
	v_fma_f64 v[0:1], v[4:5], v[8:9], 0
	s_wait_dscnt 0x4
	v_fma_f64 v[36:37], v[4:5], v[14:15], 0
	;; [unrolled: 2-line block ×5, first 2 shown]
	ds_load_2addr_b64 v[14:17], v45 offset0:24 offset1:28
	ds_load_2addr_b64 v[22:25], v45 offset0:64 offset1:68
	v_fmac_f64_e32 v[0:1], v[6:7], v[10:11]
	s_wait_dscnt 0x1
	v_fmac_f64_e32 v[36:37], v[6:7], v[14:15]
	v_fmac_f64_e32 v[38:39], v[6:7], v[18:19]
	s_wait_dscnt 0x0
	v_fmac_f64_e32 v[40:41], v[6:7], v[22:23]
	v_fmac_f64_e32 v[42:43], v[6:7], v[26:27]
	ds_load_2addr_b64 v[4:7], v45 offset0:8 offset1:12
	ds_load_2addr_b64 v[8:11], v45 offset0:48 offset1:52
	;; [unrolled: 1-line block ×3, first 2 shown]
	s_wait_dscnt 0x2
	v_fmac_f64_e32 v[0:1], v[28:29], v[4:5]
	v_fmac_f64_e32 v[36:37], v[28:29], v[16:17]
	s_wait_dscnt 0x1
	v_fmac_f64_e32 v[38:39], v[28:29], v[8:9]
	v_fmac_f64_e32 v[40:41], v[28:29], v[24:25]
	s_wait_dscnt 0x0
	v_fmac_f64_e32 v[42:43], v[28:29], v[32:33]
	ds_load_2addr_b64 v[14:17], v45 offset0:32 offset1:36
	ds_load_2addr_b64 v[22:25], v45 offset0:72 offset1:76
	v_fmac_f64_e32 v[0:1], v[30:31], v[6:7]
	s_wait_dscnt 0x1
	v_fmac_f64_e32 v[36:37], v[30:31], v[14:15]
	v_fmac_f64_e32 v[38:39], v[30:31], v[10:11]
	s_wait_dscnt 0x0
	v_fmac_f64_e32 v[40:41], v[30:31], v[22:23]
	v_fmac_f64_e32 v[42:43], v[30:31], v[34:35]
	ds_load_b64 v[4:5], v44 offset:2048
	ds_load_b64 v[6:7], v45 offset:768
	s_wait_dscnt 0x1
	v_fmac_f64_e32 v[0:1], v[4:5], v[12:13]
	v_fmac_f64_e32 v[36:37], v[4:5], v[16:17]
	;; [unrolled: 1-line block ×4, first 2 shown]
	s_wait_dscnt 0x0
	v_fmac_f64_e32 v[42:43], v[4:5], v[6:7]
	v_lshl_add_u32 v4, v3, 5, v45
	ds_store_2addr_b64 v4, v[0:1], v[36:37] offset0:126 offset1:142
	ds_store_2addr_b64 v4, v[38:39], v[40:41] offset0:158 offset1:174
	ds_store_b64 v4, v[42:43] offset:1520
.LBB1_24:
	s_or_b32 exec_lo, exec_lo, s1
	s_wait_dscnt 0x0
	; wave barrier
	s_and_saveexec_b32 s0, vcc_lo
	s_cbranch_execz .LBB1_27
; %bb.25:
	v_cmp_gt_u32_e32 vcc_lo, 4, v2
	s_and_b32 exec_lo, exec_lo, vcc_lo
	s_cbranch_execz .LBB1_27
; %bb.26:
	v_dual_mov_b32 v37, 0 :: v_dual_lshlrev_b32 v36, 5, v3
	s_lshl_b64 s[0:1], s[2:3], 9
	s_delay_alu instid0(VALU_DEP_1) | instskip(SKIP_1) | instid1(VALU_DEP_2)
	v_dual_mov_b32 v3, v37 :: v_dual_lshlrev_b32 v2, 3, v2
	s_wait_kmcnt 0x0
	v_add_nc_u64_e32 v[0:1], s[14:15], v[36:37]
	s_delay_alu instid0(VALU_DEP_2) | instskip(NEXT) | instid1(VALU_DEP_2)
	v_add_nc_u32_e32 v36, v36, v2
	v_add_nc_u64_e32 v[0:1], s[0:1], v[0:1]
	s_delay_alu instid0(VALU_DEP_1)
	v_add_nc_u64_e32 v[38:39], v[0:1], v[2:3]
	s_clause 0x3
	global_load_b64 v[40:41], v[38:39], off
	global_load_b64 v[42:43], v[38:39], off offset:128
	global_load_b64 v[44:45], v[38:39], off offset:256
	;; [unrolled: 1-line block ×3, first 2 shown]
	ds_load_2addr_b64 v[0:3], v36 offset0:126 offset1:142
	ds_load_b128 v[4:7], v37 offset:2016
	ds_load_b128 v[8:11], v37 offset:2032
	;; [unrolled: 1-line block ×8, first 2 shown]
	s_wait_dscnt 0x7
	v_fma_f64 v[48:49], v[0:1], v[4:5], 0
	s_wait_dscnt 0x3
	v_fma_f64 v[22:23], v[0:1], v[22:23], 0
	v_fma_f64 v[50:51], v[0:1], v[14:15], 0
	;; [unrolled: 1-line block ×3, first 2 shown]
	s_delay_alu instid0(VALU_DEP_4)
	v_fmac_f64_e32 v[48:49], v[2:3], v[6:7]
	ds_load_b128 v[4:7], v37 offset:2144
	ds_load_b128 v[14:17], v37 offset:2160
	s_wait_dscnt 0x4
	v_fmac_f64_e32 v[50:51], v[2:3], v[24:25]
	v_fmac_f64_e32 v[52:53], v[2:3], v[18:19]
	s_wait_dscnt 0x1
	v_fmac_f64_e32 v[22:23], v[2:3], v[4:5]
	ds_load_2addr_b64 v[0:3], v36 offset0:158 offset1:174
	s_wait_dscnt 0x0
	v_fmac_f64_e32 v[48:49], v[0:1], v[8:9]
	v_fmac_f64_e32 v[50:51], v[0:1], v[26:27]
	;; [unrolled: 1-line block ×4, first 2 shown]
	ds_load_b64 v[0:1], v36 offset:1520
	v_fmac_f64_e32 v[48:49], v[2:3], v[10:11]
	v_fmac_f64_e32 v[50:51], v[2:3], v[32:33]
	;; [unrolled: 1-line block ×4, first 2 shown]
	s_wait_dscnt 0x0
	s_delay_alu instid0(VALU_DEP_4) | instskip(NEXT) | instid1(VALU_DEP_4)
	v_fmac_f64_e32 v[48:49], v[0:1], v[12:13]
	v_fmac_f64_e32 v[50:51], v[0:1], v[34:35]
	s_delay_alu instid0(VALU_DEP_4) | instskip(NEXT) | instid1(VALU_DEP_4)
	v_fmac_f64_e32 v[52:53], v[0:1], v[20:21]
	v_fmac_f64_e32 v[22:23], v[0:1], v[16:17]
	s_wait_loadcnt 0x3
	s_delay_alu instid0(VALU_DEP_4) | instskip(SKIP_1) | instid1(VALU_DEP_4)
	v_add_f64_e32 v[0:1], v[48:49], v[40:41]
	s_wait_loadcnt 0x2
	v_add_f64_e32 v[2:3], v[50:51], v[42:43]
	s_wait_loadcnt 0x1
	s_delay_alu instid0(VALU_DEP_4) | instskip(SKIP_1) | instid1(VALU_DEP_4)
	v_add_f64_e32 v[4:5], v[52:53], v[44:45]
	s_wait_loadcnt 0x0
	v_add_f64_e32 v[6:7], v[22:23], v[46:47]
	s_clause 0x3
	global_store_b64 v[38:39], v[0:1], off
	global_store_b64 v[38:39], v[2:3], off offset:128
	global_store_b64 v[38:39], v[4:5], off offset:256
	;; [unrolled: 1-line block ×3, first 2 shown]
.LBB1_27:
	s_endpgm
	.section	.rodata,"a",@progbits
	.p2align	6, 0x0
	.amdhsa_kernel _ZN4RAJA34launch_new_reduce_global_fcn_fixedIZN8rajaperf4apps8MASS3DPA17runHipVariantImplILm25EEEvNS1_9VariantIDEEUlNS_14LaunchContextTINS_3hip33LaunchContextIndicesAndDimsPolicyINS7_14IndicesAndDimsILb0ELb0ELb0ELb0EEEEEEEE_Li25ENS_4expt15ForallParamPackIJEEEEEvT_T1_
		.amdhsa_group_segment_fixed_size 2176
		.amdhsa_private_segment_fixed_size 0
		.amdhsa_kernarg_size 52
		.amdhsa_user_sgpr_count 2
		.amdhsa_user_sgpr_dispatch_ptr 0
		.amdhsa_user_sgpr_queue_ptr 0
		.amdhsa_user_sgpr_kernarg_segment_ptr 1
		.amdhsa_user_sgpr_dispatch_id 0
		.amdhsa_user_sgpr_kernarg_preload_length 0
		.amdhsa_user_sgpr_kernarg_preload_offset 0
		.amdhsa_user_sgpr_private_segment_size 0
		.amdhsa_wavefront_size32 1
		.amdhsa_uses_dynamic_stack 0
		.amdhsa_enable_private_segment 0
		.amdhsa_system_sgpr_workgroup_id_x 1
		.amdhsa_system_sgpr_workgroup_id_y 0
		.amdhsa_system_sgpr_workgroup_id_z 0
		.amdhsa_system_sgpr_workgroup_info 0
		.amdhsa_system_vgpr_workitem_id 1
		.amdhsa_next_free_vgpr 56
		.amdhsa_next_free_sgpr 16
		.amdhsa_named_barrier_count 0
		.amdhsa_reserve_vcc 1
		.amdhsa_float_round_mode_32 0
		.amdhsa_float_round_mode_16_64 0
		.amdhsa_float_denorm_mode_32 3
		.amdhsa_float_denorm_mode_16_64 3
		.amdhsa_fp16_overflow 0
		.amdhsa_memory_ordered 1
		.amdhsa_forward_progress 1
		.amdhsa_inst_pref_size 21
		.amdhsa_round_robin_scheduling 0
		.amdhsa_exception_fp_ieee_invalid_op 0
		.amdhsa_exception_fp_denorm_src 0
		.amdhsa_exception_fp_ieee_div_zero 0
		.amdhsa_exception_fp_ieee_overflow 0
		.amdhsa_exception_fp_ieee_underflow 0
		.amdhsa_exception_fp_ieee_inexact 0
		.amdhsa_exception_int_div_zero 0
	.end_amdhsa_kernel
	.section	.text._ZN4RAJA34launch_new_reduce_global_fcn_fixedIZN8rajaperf4apps8MASS3DPA17runHipVariantImplILm25EEEvNS1_9VariantIDEEUlNS_14LaunchContextTINS_3hip33LaunchContextIndicesAndDimsPolicyINS7_14IndicesAndDimsILb0ELb0ELb0ELb0EEEEEEEE_Li25ENS_4expt15ForallParamPackIJEEEEEvT_T1_,"axG",@progbits,_ZN4RAJA34launch_new_reduce_global_fcn_fixedIZN8rajaperf4apps8MASS3DPA17runHipVariantImplILm25EEEvNS1_9VariantIDEEUlNS_14LaunchContextTINS_3hip33LaunchContextIndicesAndDimsPolicyINS7_14IndicesAndDimsILb0ELb0ELb0ELb0EEEEEEEE_Li25ENS_4expt15ForallParamPackIJEEEEEvT_T1_,comdat
.Lfunc_end1:
	.size	_ZN4RAJA34launch_new_reduce_global_fcn_fixedIZN8rajaperf4apps8MASS3DPA17runHipVariantImplILm25EEEvNS1_9VariantIDEEUlNS_14LaunchContextTINS_3hip33LaunchContextIndicesAndDimsPolicyINS7_14IndicesAndDimsILb0ELb0ELb0ELb0EEEEEEEE_Li25ENS_4expt15ForallParamPackIJEEEEEvT_T1_, .Lfunc_end1-_ZN4RAJA34launch_new_reduce_global_fcn_fixedIZN8rajaperf4apps8MASS3DPA17runHipVariantImplILm25EEEvNS1_9VariantIDEEUlNS_14LaunchContextTINS_3hip33LaunchContextIndicesAndDimsPolicyINS7_14IndicesAndDimsILb0ELb0ELb0ELb0EEEEEEEE_Li25ENS_4expt15ForallParamPackIJEEEEEvT_T1_
                                        ; -- End function
	.set _ZN4RAJA34launch_new_reduce_global_fcn_fixedIZN8rajaperf4apps8MASS3DPA17runHipVariantImplILm25EEEvNS1_9VariantIDEEUlNS_14LaunchContextTINS_3hip33LaunchContextIndicesAndDimsPolicyINS7_14IndicesAndDimsILb0ELb0ELb0ELb0EEEEEEEE_Li25ENS_4expt15ForallParamPackIJEEEEEvT_T1_.num_vgpr, 56
	.set _ZN4RAJA34launch_new_reduce_global_fcn_fixedIZN8rajaperf4apps8MASS3DPA17runHipVariantImplILm25EEEvNS1_9VariantIDEEUlNS_14LaunchContextTINS_3hip33LaunchContextIndicesAndDimsPolicyINS7_14IndicesAndDimsILb0ELb0ELb0ELb0EEEEEEEE_Li25ENS_4expt15ForallParamPackIJEEEEEvT_T1_.num_agpr, 0
	.set _ZN4RAJA34launch_new_reduce_global_fcn_fixedIZN8rajaperf4apps8MASS3DPA17runHipVariantImplILm25EEEvNS1_9VariantIDEEUlNS_14LaunchContextTINS_3hip33LaunchContextIndicesAndDimsPolicyINS7_14IndicesAndDimsILb0ELb0ELb0ELb0EEEEEEEE_Li25ENS_4expt15ForallParamPackIJEEEEEvT_T1_.numbered_sgpr, 16
	.set _ZN4RAJA34launch_new_reduce_global_fcn_fixedIZN8rajaperf4apps8MASS3DPA17runHipVariantImplILm25EEEvNS1_9VariantIDEEUlNS_14LaunchContextTINS_3hip33LaunchContextIndicesAndDimsPolicyINS7_14IndicesAndDimsILb0ELb0ELb0ELb0EEEEEEEE_Li25ENS_4expt15ForallParamPackIJEEEEEvT_T1_.num_named_barrier, 0
	.set _ZN4RAJA34launch_new_reduce_global_fcn_fixedIZN8rajaperf4apps8MASS3DPA17runHipVariantImplILm25EEEvNS1_9VariantIDEEUlNS_14LaunchContextTINS_3hip33LaunchContextIndicesAndDimsPolicyINS7_14IndicesAndDimsILb0ELb0ELb0ELb0EEEEEEEE_Li25ENS_4expt15ForallParamPackIJEEEEEvT_T1_.private_seg_size, 0
	.set _ZN4RAJA34launch_new_reduce_global_fcn_fixedIZN8rajaperf4apps8MASS3DPA17runHipVariantImplILm25EEEvNS1_9VariantIDEEUlNS_14LaunchContextTINS_3hip33LaunchContextIndicesAndDimsPolicyINS7_14IndicesAndDimsILb0ELb0ELb0ELb0EEEEEEEE_Li25ENS_4expt15ForallParamPackIJEEEEEvT_T1_.uses_vcc, 1
	.set _ZN4RAJA34launch_new_reduce_global_fcn_fixedIZN8rajaperf4apps8MASS3DPA17runHipVariantImplILm25EEEvNS1_9VariantIDEEUlNS_14LaunchContextTINS_3hip33LaunchContextIndicesAndDimsPolicyINS7_14IndicesAndDimsILb0ELb0ELb0ELb0EEEEEEEE_Li25ENS_4expt15ForallParamPackIJEEEEEvT_T1_.uses_flat_scratch, 0
	.set _ZN4RAJA34launch_new_reduce_global_fcn_fixedIZN8rajaperf4apps8MASS3DPA17runHipVariantImplILm25EEEvNS1_9VariantIDEEUlNS_14LaunchContextTINS_3hip33LaunchContextIndicesAndDimsPolicyINS7_14IndicesAndDimsILb0ELb0ELb0ELb0EEEEEEEE_Li25ENS_4expt15ForallParamPackIJEEEEEvT_T1_.has_dyn_sized_stack, 0
	.set _ZN4RAJA34launch_new_reduce_global_fcn_fixedIZN8rajaperf4apps8MASS3DPA17runHipVariantImplILm25EEEvNS1_9VariantIDEEUlNS_14LaunchContextTINS_3hip33LaunchContextIndicesAndDimsPolicyINS7_14IndicesAndDimsILb0ELb0ELb0ELb0EEEEEEEE_Li25ENS_4expt15ForallParamPackIJEEEEEvT_T1_.has_recursion, 0
	.set _ZN4RAJA34launch_new_reduce_global_fcn_fixedIZN8rajaperf4apps8MASS3DPA17runHipVariantImplILm25EEEvNS1_9VariantIDEEUlNS_14LaunchContextTINS_3hip33LaunchContextIndicesAndDimsPolicyINS7_14IndicesAndDimsILb0ELb0ELb0ELb0EEEEEEEE_Li25ENS_4expt15ForallParamPackIJEEEEEvT_T1_.has_indirect_call, 0
	.section	.AMDGPU.csdata,"",@progbits
; Kernel info:
; codeLenInByte = 2608
; TotalNumSgprs: 18
; NumVgprs: 56
; ScratchSize: 0
; MemoryBound: 0
; FloatMode: 240
; IeeeMode: 1
; LDSByteSize: 2176 bytes/workgroup (compile time only)
; SGPRBlocks: 0
; VGPRBlocks: 3
; NumSGPRsForWavesPerEU: 18
; NumVGPRsForWavesPerEU: 56
; NamedBarCnt: 0
; Occupancy: 16
; WaveLimiterHint : 1
; COMPUTE_PGM_RSRC2:SCRATCH_EN: 0
; COMPUTE_PGM_RSRC2:USER_SGPR: 2
; COMPUTE_PGM_RSRC2:TRAP_HANDLER: 0
; COMPUTE_PGM_RSRC2:TGID_X_EN: 1
; COMPUTE_PGM_RSRC2:TGID_Y_EN: 0
; COMPUTE_PGM_RSRC2:TGID_Z_EN: 0
; COMPUTE_PGM_RSRC2:TIDIG_COMP_CNT: 1
	.section	.AMDGPU.gpr_maximums,"",@progbits
	.set amdgpu.max_num_vgpr, 0
	.set amdgpu.max_num_agpr, 0
	.set amdgpu.max_num_sgpr, 0
	.section	.AMDGPU.csdata,"",@progbits
	.type	__hip_cuid_105a851857d118c6,@object ; @__hip_cuid_105a851857d118c6
	.section	.bss,"aw",@nobits
	.globl	__hip_cuid_105a851857d118c6
__hip_cuid_105a851857d118c6:
	.byte	0                               ; 0x0
	.size	__hip_cuid_105a851857d118c6, 1

	.ident	"AMD clang version 22.0.0git (https://github.com/RadeonOpenCompute/llvm-project roc-7.2.4 26084 f58b06dce1f9c15707c5f808fd002e18c2accf7e)"
	.section	".note.GNU-stack","",@progbits
	.addrsig
	.addrsig_sym __hip_cuid_105a851857d118c6
	.amdgpu_metadata
---
amdhsa.kernels:
  - .args:
      - .address_space:  global
        .offset:         0
        .size:           8
        .value_kind:     global_buffer
      - .address_space:  global
        .offset:         8
        .size:           8
        .value_kind:     global_buffer
      - .address_space:  global
        .offset:         16
        .size:           8
        .value_kind:     global_buffer
      - .address_space:  global
        .offset:         24
        .size:           8
        .value_kind:     global_buffer
      - .address_space:  global
        .offset:         32
        .size:           8
        .value_kind:     global_buffer
    .group_segment_fixed_size: 2176
    .kernarg_segment_align: 8
    .kernarg_segment_size: 40
    .language:       OpenCL C
    .language_version:
      - 2
      - 0
    .max_flat_workgroup_size: 25
    .name:           _ZN8rajaperf4apps8Mass3DPAILm25EEEvPdS2_S2_S2_S2_
    .private_segment_fixed_size: 0
    .sgpr_count:     20
    .sgpr_spill_count: 0
    .symbol:         _ZN8rajaperf4apps8Mass3DPAILm25EEEvPdS2_S2_S2_S2_.kd
    .uniform_work_group_size: 1
    .uses_dynamic_stack: false
    .vgpr_count:     56
    .vgpr_spill_count: 0
    .wavefront_size: 32
  - .args:
      - .offset:         0
        .size:           48
        .value_kind:     by_value
      - .offset:         48
        .size:           1
        .value_kind:     by_value
    .group_segment_fixed_size: 2176
    .kernarg_segment_align: 8
    .kernarg_segment_size: 52
    .language:       OpenCL C
    .language_version:
      - 2
      - 0
    .max_flat_workgroup_size: 25
    .name:           _ZN4RAJA34launch_new_reduce_global_fcn_fixedIZN8rajaperf4apps8MASS3DPA17runHipVariantImplILm25EEEvNS1_9VariantIDEEUlNS_14LaunchContextTINS_3hip33LaunchContextIndicesAndDimsPolicyINS7_14IndicesAndDimsILb0ELb0ELb0ELb0EEEEEEEE_Li25ENS_4expt15ForallParamPackIJEEEEEvT_T1_
    .private_segment_fixed_size: 0
    .sgpr_count:     18
    .sgpr_spill_count: 0
    .symbol:         _ZN4RAJA34launch_new_reduce_global_fcn_fixedIZN8rajaperf4apps8MASS3DPA17runHipVariantImplILm25EEEvNS1_9VariantIDEEUlNS_14LaunchContextTINS_3hip33LaunchContextIndicesAndDimsPolicyINS7_14IndicesAndDimsILb0ELb0ELb0ELb0EEEEEEEE_Li25ENS_4expt15ForallParamPackIJEEEEEvT_T1_.kd
    .uniform_work_group_size: 1
    .uses_dynamic_stack: false
    .vgpr_count:     56
    .vgpr_spill_count: 0
    .wavefront_size: 32
amdhsa.target:   amdgcn-amd-amdhsa--gfx1250
amdhsa.version:
  - 1
  - 2
...

	.end_amdgpu_metadata
